;; amdgpu-corpus repo=ROCm/rocFFT kind=compiled arch=gfx1201 opt=O3
	.text
	.amdgcn_target "amdgcn-amd-amdhsa--gfx1201"
	.amdhsa_code_object_version 6
	.protected	fft_rtc_back_len192_factors_8_6_4_wgs_480_tpt_48_half_ip_CI_sbcc_twdbase8_2step_dirReg ; -- Begin function fft_rtc_back_len192_factors_8_6_4_wgs_480_tpt_48_half_ip_CI_sbcc_twdbase8_2step_dirReg
	.globl	fft_rtc_back_len192_factors_8_6_4_wgs_480_tpt_48_half_ip_CI_sbcc_twdbase8_2step_dirReg
	.p2align	8
	.type	fft_rtc_back_len192_factors_8_6_4_wgs_480_tpt_48_half_ip_CI_sbcc_twdbase8_2step_dirReg,@function
fft_rtc_back_len192_factors_8_6_4_wgs_480_tpt_48_half_ip_CI_sbcc_twdbase8_2step_dirReg: ; @fft_rtc_back_len192_factors_8_6_4_wgs_480_tpt_48_half_ip_CI_sbcc_twdbase8_2step_dirReg
; %bb.0:
	s_load_b128 s[12:15], s[0:1], 0x18
	s_mov_b32 s21, 0
	s_mov_b32 s2, 0x99986000
	s_movk_i32 s3, 0x59
	s_mov_b32 s20, s21
	s_mov_b64 s[26:27], 0
	s_add_nc_u64 s[2:3], s[20:21], s[2:3]
	s_delay_alu instid0(SALU_CYCLE_1) | instskip(NEXT) | instid1(SALU_CYCLE_1)
	s_add_co_i32 s3, s3, 0x19999940
	s_mul_u64 s[4:5], s[2:3], -10
	s_delay_alu instid0(SALU_CYCLE_1)
	s_mul_hi_u32 s7, s2, s5
	s_mul_i32 s6, s2, s5
	s_mul_hi_u32 s20, s2, s4
	s_mul_i32 s9, s3, s4
	s_add_nc_u64 s[6:7], s[20:21], s[6:7]
	s_mul_hi_u32 s8, s3, s4
	s_mul_hi_u32 s10, s3, s5
	s_mul_i32 s4, s3, s5
	s_wait_kmcnt 0x0
	s_load_b64 s[16:17], s[12:13], 0x8
	s_add_co_u32 s5, s6, s9
	s_add_co_ci_u32 s20, s7, s8
	s_add_co_ci_u32 s5, s10, 0
	s_delay_alu instid0(SALU_CYCLE_1) | instskip(NEXT) | instid1(SALU_CYCLE_1)
	s_add_nc_u64 s[4:5], s[20:21], s[4:5]
	v_add_co_u32 v1, s2, s2, s4
	s_delay_alu instid0(VALU_DEP_1) | instskip(SKIP_1) | instid1(VALU_DEP_1)
	s_cmp_lg_u32 s2, 0
	s_add_co_ci_u32 s6, s3, s5
	v_readfirstlane_b32 s7, v1
	s_wait_kmcnt 0x0
	s_add_nc_u64 s[2:3], s[16:17], -1
	s_wait_alu 0xfffe
	s_mul_hi_u32 s5, s2, s6
	s_mul_i32 s4, s2, s6
	s_mul_hi_u32 s20, s2, s7
	s_mul_hi_u32 s9, s3, s7
	s_mul_i32 s7, s3, s7
	s_wait_alu 0xfffe
	s_add_nc_u64 s[4:5], s[20:21], s[4:5]
	s_mul_hi_u32 s8, s3, s6
	s_wait_alu 0xfffe
	s_add_co_u32 s4, s4, s7
	s_add_co_ci_u32 s20, s5, s9
	s_mul_i32 s6, s3, s6
	s_add_co_ci_u32 s7, s8, 0
	s_delay_alu instid0(SALU_CYCLE_1) | instskip(SKIP_3) | instid1(SALU_CYCLE_1)
	s_add_nc_u64 s[4:5], s[20:21], s[6:7]
	s_mov_b32 s20, ttmp9
	s_wait_alu 0xfffe
	s_mul_u64 s[6:7], s[4:5], 10
	v_sub_co_u32 v1, s2, s2, s6
	s_delay_alu instid0(VALU_DEP_1) | instskip(SKIP_1) | instid1(VALU_DEP_1)
	s_cmp_lg_u32 s2, 0
	s_sub_co_ci_u32 s8, s3, s7
	v_sub_co_u32 v2, s6, v1, 10
	s_delay_alu instid0(VALU_DEP_1) | instskip(SKIP_2) | instid1(VALU_DEP_2)
	s_cmp_lg_u32 s6, 0
	v_readfirstlane_b32 s10, v1
	s_sub_co_ci_u32 s6, s8, 0
	v_readfirstlane_b32 s2, v2
	s_delay_alu instid0(VALU_DEP_1)
	s_cmp_gt_u32 s2, 9
	s_add_nc_u64 s[2:3], s[4:5], 1
	s_cselect_b32 s9, -1, 0
	s_wait_alu 0xfffe
	s_cmp_eq_u32 s6, 0
	s_add_nc_u64 s[6:7], s[4:5], 2
	s_cselect_b32 s9, s9, -1
	s_delay_alu instid0(SALU_CYCLE_1)
	s_cmp_lg_u32 s9, 0
	s_wait_alu 0xfffe
	s_cselect_b32 s2, s6, s2
	s_cselect_b32 s3, s7, s3
	s_cmp_gt_u32 s10, 9
	s_cselect_b32 s6, -1, 0
	s_cmp_eq_u32 s8, 0
	s_wait_alu 0xfffe
	s_cselect_b32 s6, s6, -1
	s_wait_alu 0xfffe
	s_cmp_lg_u32 s6, 0
	s_cselect_b32 s3, s3, s5
	s_cselect_b32 s2, s2, s4
	s_wait_alu 0xfffe
	s_add_nc_u64 s[22:23], s[2:3], 1
	s_delay_alu instid0(SALU_CYCLE_1) | instskip(NEXT) | instid1(VALU_DEP_1)
	v_cmp_lt_u64_e64 s2, s[20:21], s[22:23]
	s_and_b32 vcc_lo, exec_lo, s2
	s_cbranch_vccnz .LBB0_2
; %bb.1:
	v_cvt_f32_u32_e32 v1, s22
	s_sub_co_i32 s3, 0, s22
	s_mov_b32 s27, s21
	s_delay_alu instid0(VALU_DEP_1) | instskip(NEXT) | instid1(TRANS32_DEP_1)
	v_rcp_iflag_f32_e32 v1, v1
	v_mul_f32_e32 v1, 0x4f7ffffe, v1
	s_delay_alu instid0(VALU_DEP_1) | instskip(NEXT) | instid1(VALU_DEP_1)
	v_cvt_u32_f32_e32 v1, v1
	v_readfirstlane_b32 s2, v1
	s_wait_alu 0xfffe
	s_delay_alu instid0(VALU_DEP_1)
	s_mul_i32 s3, s3, s2
	s_wait_alu 0xfffe
	s_mul_hi_u32 s3, s2, s3
	s_wait_alu 0xfffe
	s_add_co_i32 s2, s2, s3
	s_wait_alu 0xfffe
	s_mul_hi_u32 s2, s20, s2
	s_wait_alu 0xfffe
	s_mul_i32 s3, s2, s22
	s_add_co_i32 s4, s2, 1
	s_wait_alu 0xfffe
	s_sub_co_i32 s3, s20, s3
	s_wait_alu 0xfffe
	s_sub_co_i32 s5, s3, s22
	s_cmp_ge_u32 s3, s22
	s_cselect_b32 s2, s4, s2
	s_wait_alu 0xfffe
	s_cselect_b32 s3, s5, s3
	s_add_co_i32 s4, s2, 1
	s_wait_alu 0xfffe
	s_cmp_ge_u32 s3, s22
	s_cselect_b32 s26, s4, s2
.LBB0_2:
	s_load_b128 s[8:11], s[0:1], 0x8
	s_load_b128 s[4:7], s[14:15], 0x0
	s_load_b64 s[2:3], s[0:1], 0x0
	s_mul_u64 s[18:19], s[26:27], s[22:23]
	s_delay_alu instid0(SALU_CYCLE_1) | instskip(NEXT) | instid1(SALU_CYCLE_1)
	s_sub_nc_u64 s[18:19], s[20:21], s[18:19]
	s_mul_u64 s[18:19], s[18:19], 10
	s_wait_kmcnt 0x0
	v_cmp_lt_u64_e64 s24, s[10:11], 3
	s_delay_alu instid0(VALU_DEP_1)
	s_and_b32 vcc_lo, exec_lo, s24
	s_mul_u64 s[24:25], s[6:7], s[18:19]
	s_cbranch_vccnz .LBB0_12
; %bb.3:
	s_add_nc_u64 s[28:29], s[14:15], 16
	s_add_nc_u64 s[12:13], s[12:13], 16
	s_mov_b64 s[30:31], 2
	s_mov_b32 s34, 0
.LBB0_4:                                ; =>This Inner Loop Header: Depth=1
	s_load_b64 s[36:37], s[12:13], 0x0
                                        ; implicit-def: $sgpr40_sgpr41
	s_wait_kmcnt 0x0
	s_or_b64 s[38:39], s[26:27], s[36:37]
	s_delay_alu instid0(SALU_CYCLE_1)
	s_mov_b32 s35, s39
	s_mov_b32 s39, -1
	s_cmp_lg_u64 s[34:35], 0
	s_cbranch_scc0 .LBB0_6
; %bb.5:                                ;   in Loop: Header=BB0_4 Depth=1
	s_cvt_f32_u32 s33, s36
	s_cvt_f32_u32 s35, s37
	s_sub_nc_u64 s[42:43], 0, s[36:37]
	s_mov_b32 s39, 0
	s_mov_b32 s47, s34
	s_wait_alu 0xfffe
	s_fmamk_f32 s33, s35, 0x4f800000, s33
	s_wait_alu 0xfffe
	s_delay_alu instid0(SALU_CYCLE_2) | instskip(NEXT) | instid1(TRANS32_DEP_1)
	v_s_rcp_f32 s33, s33
	s_mul_f32 s33, s33, 0x5f7ffffc
	s_wait_alu 0xfffe
	s_delay_alu instid0(SALU_CYCLE_2) | instskip(NEXT) | instid1(SALU_CYCLE_3)
	s_mul_f32 s35, s33, 0x2f800000
	s_trunc_f32 s35, s35
	s_delay_alu instid0(SALU_CYCLE_3) | instskip(SKIP_2) | instid1(SALU_CYCLE_1)
	s_fmamk_f32 s33, s35, 0xcf800000, s33
	s_cvt_u32_f32 s41, s35
	s_wait_alu 0xfffe
	s_cvt_u32_f32 s40, s33
	s_wait_alu 0xfffe
	s_delay_alu instid0(SALU_CYCLE_2)
	s_mul_u64 s[44:45], s[42:43], s[40:41]
	s_wait_alu 0xfffe
	s_mul_hi_u32 s49, s40, s45
	s_mul_i32 s48, s40, s45
	s_mul_hi_u32 s38, s40, s44
	s_mul_i32 s35, s41, s44
	s_add_nc_u64 s[48:49], s[38:39], s[48:49]
	s_mul_hi_u32 s33, s41, s44
	s_mul_hi_u32 s50, s41, s45
	s_add_co_u32 s35, s48, s35
	s_wait_alu 0xfffe
	s_add_co_ci_u32 s46, s49, s33
	s_mul_i32 s44, s41, s45
	s_add_co_ci_u32 s45, s50, 0
	s_wait_alu 0xfffe
	s_add_nc_u64 s[44:45], s[46:47], s[44:45]
	s_wait_alu 0xfffe
	v_add_co_u32 v1, s33, s40, s44
	s_delay_alu instid0(VALU_DEP_1) | instskip(SKIP_1) | instid1(VALU_DEP_1)
	s_cmp_lg_u32 s33, 0
	s_add_co_ci_u32 s41, s41, s45
	v_readfirstlane_b32 s40, v1
	s_mov_b32 s45, s34
	s_wait_alu 0xfffe
	s_delay_alu instid0(VALU_DEP_1)
	s_mul_u64 s[42:43], s[42:43], s[40:41]
	s_wait_alu 0xfffe
	s_mul_hi_u32 s47, s40, s43
	s_mul_i32 s46, s40, s43
	s_mul_hi_u32 s38, s40, s42
	s_mul_i32 s35, s41, s42
	s_add_nc_u64 s[46:47], s[38:39], s[46:47]
	s_mul_hi_u32 s33, s41, s42
	s_mul_hi_u32 s40, s41, s43
	s_add_co_u32 s35, s46, s35
	s_wait_alu 0xfffe
	s_add_co_ci_u32 s44, s47, s33
	s_mul_i32 s42, s41, s43
	s_add_co_ci_u32 s43, s40, 0
	s_wait_alu 0xfffe
	s_add_nc_u64 s[42:43], s[44:45], s[42:43]
	s_wait_alu 0xfffe
	v_add_co_u32 v1, s33, v1, s42
	s_delay_alu instid0(VALU_DEP_1) | instskip(SKIP_1) | instid1(VALU_DEP_1)
	s_cmp_lg_u32 s33, 0
	s_add_co_ci_u32 s33, s41, s43
	v_readfirstlane_b32 s35, v1
	s_wait_alu 0xfffe
	s_mul_hi_u32 s41, s26, s33
	s_mul_i32 s40, s26, s33
	s_mul_hi_u32 s43, s27, s33
	s_mul_i32 s42, s27, s33
	;; [unrolled: 2-line block ×3, first 2 shown]
	s_wait_alu 0xfffe
	s_add_nc_u64 s[40:41], s[38:39], s[40:41]
	s_mul_hi_u32 s35, s27, s35
	s_wait_alu 0xfffe
	s_add_co_u32 s33, s40, s33
	s_add_co_ci_u32 s44, s41, s35
	s_add_co_ci_u32 s43, s43, 0
	s_wait_alu 0xfffe
	s_add_nc_u64 s[40:41], s[44:45], s[42:43]
	s_wait_alu 0xfffe
	s_mul_u64 s[42:43], s[36:37], s[40:41]
	s_add_nc_u64 s[44:45], s[40:41], 1
	s_wait_alu 0xfffe
	v_sub_co_u32 v1, s33, s26, s42
	s_sub_co_i32 s35, s27, s43
	s_cmp_lg_u32 s33, 0
	s_add_nc_u64 s[46:47], s[40:41], 2
	s_delay_alu instid0(VALU_DEP_1) | instskip(SKIP_2) | instid1(VALU_DEP_1)
	v_sub_co_u32 v2, s38, v1, s36
	s_sub_co_ci_u32 s35, s35, s37
	s_cmp_lg_u32 s38, 0
	v_readfirstlane_b32 s38, v2
	s_sub_co_ci_u32 s35, s35, 0
	s_delay_alu instid0(SALU_CYCLE_1) | instskip(SKIP_1) | instid1(VALU_DEP_1)
	s_cmp_ge_u32 s35, s37
	s_cselect_b32 s42, -1, 0
	s_cmp_ge_u32 s38, s36
	s_cselect_b32 s38, -1, 0
	s_cmp_eq_u32 s35, s37
	s_wait_alu 0xfffe
	s_cselect_b32 s35, s38, s42
	s_delay_alu instid0(SALU_CYCLE_1)
	s_cmp_lg_u32 s35, 0
	s_cselect_b32 s35, s46, s44
	s_cselect_b32 s38, s47, s45
	s_cmp_lg_u32 s33, 0
	v_readfirstlane_b32 s33, v1
	s_sub_co_ci_u32 s42, s27, s43
	s_wait_alu 0xfffe
	s_cmp_ge_u32 s42, s37
	s_cselect_b32 s43, -1, 0
	s_cmp_ge_u32 s33, s36
	s_cselect_b32 s33, -1, 0
	s_cmp_eq_u32 s42, s37
	s_wait_alu 0xfffe
	s_cselect_b32 s33, s33, s43
	s_wait_alu 0xfffe
	s_cmp_lg_u32 s33, 0
	s_cselect_b32 s41, s38, s41
	s_cselect_b32 s40, s35, s40
.LBB0_6:                                ;   in Loop: Header=BB0_4 Depth=1
	s_and_not1_b32 vcc_lo, exec_lo, s39
	s_cbranch_vccnz .LBB0_8
; %bb.7:                                ;   in Loop: Header=BB0_4 Depth=1
	v_cvt_f32_u32_e32 v1, s36
	s_sub_co_i32 s35, 0, s36
	s_mov_b32 s41, s34
	s_delay_alu instid0(VALU_DEP_1) | instskip(NEXT) | instid1(TRANS32_DEP_1)
	v_rcp_iflag_f32_e32 v1, v1
	v_mul_f32_e32 v1, 0x4f7ffffe, v1
	s_delay_alu instid0(VALU_DEP_1) | instskip(NEXT) | instid1(VALU_DEP_1)
	v_cvt_u32_f32_e32 v1, v1
	v_readfirstlane_b32 s33, v1
	s_delay_alu instid0(VALU_DEP_1) | instskip(NEXT) | instid1(SALU_CYCLE_1)
	s_mul_i32 s35, s35, s33
	s_mul_hi_u32 s35, s33, s35
	s_delay_alu instid0(SALU_CYCLE_1)
	s_add_co_i32 s33, s33, s35
	s_wait_alu 0xfffe
	s_mul_hi_u32 s33, s26, s33
	s_wait_alu 0xfffe
	s_mul_i32 s35, s33, s36
	s_add_co_i32 s38, s33, 1
	s_sub_co_i32 s35, s26, s35
	s_delay_alu instid0(SALU_CYCLE_1)
	s_sub_co_i32 s39, s35, s36
	s_cmp_ge_u32 s35, s36
	s_cselect_b32 s33, s38, s33
	s_cselect_b32 s35, s39, s35
	s_wait_alu 0xfffe
	s_add_co_i32 s38, s33, 1
	s_cmp_ge_u32 s35, s36
	s_cselect_b32 s40, s38, s33
.LBB0_8:                                ;   in Loop: Header=BB0_4 Depth=1
	s_load_b64 s[38:39], s[28:29], 0x0
	s_add_nc_u64 s[30:31], s[30:31], 1
	s_mul_u64 s[22:23], s[36:37], s[22:23]
	s_wait_alu 0xfffe
	v_cmp_ge_u64_e64 s33, s[30:31], s[10:11]
	s_mul_u64 s[36:37], s[40:41], s[36:37]
	s_add_nc_u64 s[28:29], s[28:29], 8
	s_wait_alu 0xfffe
	s_sub_nc_u64 s[26:27], s[26:27], s[36:37]
	s_add_nc_u64 s[12:13], s[12:13], 8
	s_and_b32 vcc_lo, exec_lo, s33
	s_wait_kmcnt 0x0
	s_wait_alu 0xfffe
	s_mul_u64 s[26:27], s[38:39], s[26:27]
	s_wait_alu 0xfffe
	s_add_nc_u64 s[24:25], s[26:27], s[24:25]
	s_cbranch_vccnz .LBB0_10
; %bb.9:                                ;   in Loop: Header=BB0_4 Depth=1
	s_mov_b64 s[26:27], s[40:41]
	s_branch .LBB0_4
.LBB0_10:
	v_cmp_lt_u64_e64 s12, s[20:21], s[22:23]
	s_mov_b64 s[26:27], 0
	s_delay_alu instid0(VALU_DEP_1)
	s_and_b32 vcc_lo, exec_lo, s12
	s_cbranch_vccnz .LBB0_12
; %bb.11:
	v_cvt_f32_u32_e32 v1, s22
	s_sub_co_i32 s13, 0, s22
	s_mov_b32 s27, 0
	s_delay_alu instid0(VALU_DEP_1) | instskip(NEXT) | instid1(TRANS32_DEP_1)
	v_rcp_iflag_f32_e32 v1, v1
	v_mul_f32_e32 v1, 0x4f7ffffe, v1
	s_delay_alu instid0(VALU_DEP_1) | instskip(NEXT) | instid1(VALU_DEP_1)
	v_cvt_u32_f32_e32 v1, v1
	v_readfirstlane_b32 s12, v1
	s_delay_alu instid0(VALU_DEP_1) | instskip(NEXT) | instid1(SALU_CYCLE_1)
	s_mul_i32 s13, s13, s12
	s_mul_hi_u32 s13, s12, s13
	s_delay_alu instid0(SALU_CYCLE_1) | instskip(NEXT) | instid1(SALU_CYCLE_1)
	s_add_co_i32 s12, s12, s13
	s_mul_hi_u32 s12, s20, s12
	s_delay_alu instid0(SALU_CYCLE_1) | instskip(NEXT) | instid1(SALU_CYCLE_1)
	s_mul_i32 s13, s12, s22
	s_sub_co_i32 s13, s20, s13
	s_add_co_i32 s20, s12, 1
	s_sub_co_i32 s21, s13, s22
	s_cmp_ge_u32 s13, s22
	s_wait_alu 0xfffe
	s_cselect_b32 s12, s20, s12
	s_cselect_b32 s13, s21, s13
	s_add_co_i32 s20, s12, 1
	s_cmp_ge_u32 s13, s22
	s_wait_alu 0xfffe
	s_cselect_b32 s26, s20, s12
.LBB0_12:
	s_load_b64 s[12:13], s[0:1], 0x58
	s_lshl_b64 s[0:1], s[10:11], 3
	v_mul_u32_u24_e32 v1, 0x199a, v0
	s_add_nc_u64 s[0:1], s[14:15], s[0:1]
	s_add_nc_u64 s[14:15], s[18:19], 10
	s_load_b64 s[10:11], s[0:1], 0x0
	v_cmp_le_u64_e64 s14, s[14:15], s[16:17]
	v_lshrrev_b32_e32 v9, 16, v1
	v_cmp_gt_u32_e64 s0, 0xf0, v0
                                        ; implicit-def: $vgpr12
                                        ; implicit-def: $vgpr16
                                        ; implicit-def: $vgpr14
                                        ; implicit-def: $vgpr18
                                        ; implicit-def: $vgpr13
                                        ; implicit-def: $vgpr17
                                        ; implicit-def: $vgpr15
                                        ; implicit-def: $vgpr19
	s_delay_alu instid0(VALU_DEP_2)
	v_mul_lo_u16 v1, v9, 10
	v_add_nc_u32_e32 v11, 24, v9
	v_add_nc_u32_e32 v10, 48, v9
	v_add_nc_u32_e32 v7, 0x48, v9
	v_or_b32_e32 v6, 0x60, v9
	v_sub_nc_u16 v1, v0, v1
	v_add_nc_u32_e32 v5, 0x78, v9
	v_add_nc_u32_e32 v4, 0x90, v9
	;; [unrolled: 1-line block ×3, first 2 shown]
	s_and_b32 s15, s0, s14
	v_and_b32_e32 v8, 0xffff, v1
	s_wait_kmcnt 0x0
	s_mul_u64 s[10:11], s[10:11], s[26:27]
	s_wait_alu 0xfffe
	s_add_nc_u64 s[10:11], s[10:11], s[24:25]
	s_and_saveexec_b32 s1, s15
	s_cbranch_execz .LBB0_14
; %bb.13:
	v_mad_co_u64_u32 v[1:2], null, s6, v8, 0
	v_mad_co_u64_u32 v[14:15], null, s4, v11, 0
	;; [unrolled: 1-line block ×3, first 2 shown]
	s_wait_alu 0xfffe
	s_lshl_b64 s[20:21], s[10:11], 2
	v_mad_co_u64_u32 v[23:24], null, s4, v5, 0
	s_delay_alu instid0(VALU_DEP_4)
	v_mad_co_u64_u32 v[16:17], null, s7, v8, v[2:3]
	v_mad_co_u64_u32 v[17:18], null, s4, v10, 0
	v_mov_b32_e32 v2, v15
	v_mad_co_u64_u32 v[19:20], null, s5, v9, v[13:14]
	s_wait_alu 0xfffe
	s_add_nc_u64 s[20:21], s[12:13], s[20:21]
	v_mad_co_u64_u32 v[25:26], null, s4, v4, 0
	s_delay_alu instid0(VALU_DEP_4) | instskip(SKIP_1) | instid1(VALU_DEP_4)
	v_mov_b32_e32 v15, v18
	v_mad_co_u64_u32 v[20:21], null, s5, v11, v[2:3]
	v_dual_mov_b32 v2, v16 :: v_dual_mov_b32 v13, v19
	v_mad_co_u64_u32 v[21:22], null, s4, v7, 0
	s_delay_alu instid0(VALU_DEP_4) | instskip(NEXT) | instid1(VALU_DEP_3)
	v_mad_co_u64_u32 v[18:19], null, s5, v10, v[15:16]
	v_lshlrev_b64_e32 v[1:2], 2, v[1:2]
	v_mov_b32_e32 v15, v20
	v_lshlrev_b64_e32 v[12:13], 2, v[12:13]
	s_wait_alu 0xfffe
	s_delay_alu instid0(VALU_DEP_3) | instskip(NEXT) | instid1(VALU_DEP_4)
	v_add_co_u32 v32, vcc_lo, s20, v1
	v_add_co_ci_u32_e32 v33, vcc_lo, s21, v2, vcc_lo
	v_lshlrev_b64_e32 v[1:2], 2, v[14:15]
	v_mov_b32_e32 v14, v22
	v_mad_co_u64_u32 v[15:16], null, s4, v6, 0
	v_add_co_u32 v12, vcc_lo, v32, v12
	s_wait_alu 0xfffd
	v_add_co_ci_u32_e32 v13, vcc_lo, v33, v13, vcc_lo
	v_add_co_u32 v1, vcc_lo, v32, v1
	s_delay_alu instid0(VALU_DEP_4)
	v_mad_co_u64_u32 v[19:20], null, s5, v7, v[14:15]
	v_mov_b32_e32 v14, v16
	v_lshlrev_b64_e32 v[16:17], 2, v[17:18]
	v_mov_b32_e32 v18, v24
	s_wait_alu 0xfffd
	v_add_co_ci_u32_e32 v2, vcc_lo, v33, v2, vcc_lo
	v_mov_b32_e32 v22, v19
	v_mad_co_u64_u32 v[19:20], null, s5, v6, v[14:15]
	v_add_co_u32 v30, vcc_lo, v32, v16
	v_mov_b32_e32 v14, v26
	s_wait_alu 0xfffd
	v_add_co_ci_u32_e32 v31, vcc_lo, v33, v17, vcc_lo
	s_delay_alu instid0(VALU_DEP_4)
	v_mad_co_u64_u32 v[27:28], null, s5, v5, v[18:19]
	v_mad_co_u64_u32 v[28:29], null, s4, v3, 0
	v_mov_b32_e32 v16, v19
	v_mad_co_u64_u32 v[19:20], null, s5, v4, v[14:15]
	v_lshlrev_b64_e32 v[17:18], 2, v[21:22]
	v_mov_b32_e32 v24, v27
	s_delay_alu instid0(VALU_DEP_4) | instskip(SKIP_1) | instid1(VALU_DEP_4)
	v_lshlrev_b64_e32 v[15:16], 2, v[15:16]
	v_mov_b32_e32 v14, v29
	v_add_co_u32 v17, vcc_lo, v32, v17
	s_delay_alu instid0(VALU_DEP_2)
	v_mad_co_u64_u32 v[20:21], null, s5, v3, v[14:15]
	v_lshlrev_b64_e32 v[21:22], 2, v[23:24]
	v_mov_b32_e32 v26, v19
	s_wait_alu 0xfffd
	v_add_co_ci_u32_e32 v18, vcc_lo, v33, v18, vcc_lo
	v_add_co_u32 v23, vcc_lo, v32, v15
	v_mov_b32_e32 v29, v20
	s_wait_alu 0xfffd
	v_add_co_ci_u32_e32 v24, vcc_lo, v33, v16, vcc_lo
	v_lshlrev_b64_e32 v[14:15], 2, v[25:26]
	v_add_co_u32 v19, vcc_lo, v32, v21
	s_wait_alu 0xfffd
	v_add_co_ci_u32_e32 v20, vcc_lo, v33, v22, vcc_lo
	v_lshlrev_b64_e32 v[21:22], 2, v[28:29]
	s_delay_alu instid0(VALU_DEP_4) | instskip(SKIP_2) | instid1(VALU_DEP_3)
	v_add_co_u32 v25, vcc_lo, v32, v14
	s_wait_alu 0xfffd
	v_add_co_ci_u32_e32 v26, vcc_lo, v33, v15, vcc_lo
	v_add_co_u32 v21, vcc_lo, v32, v21
	s_wait_alu 0xfffd
	v_add_co_ci_u32_e32 v22, vcc_lo, v33, v22, vcc_lo
	s_clause 0x7
	global_load_b32 v12, v[12:13], off
	global_load_b32 v13, v[1:2], off
	global_load_b32 v14, v[30:31], off
	global_load_b32 v15, v[17:18], off
	global_load_b32 v16, v[23:24], off
	global_load_b32 v17, v[19:20], off
	global_load_b32 v18, v[25:26], off
	global_load_b32 v19, v[21:22], off
.LBB0_14:
	s_or_b32 exec_lo, exec_lo, s1
	v_add_co_u32 v1, s1, s18, v8
	s_delay_alu instid0(VALU_DEP_1) | instskip(SKIP_1) | instid1(VALU_DEP_1)
	v_add_co_ci_u32_e64 v2, null, s19, 0, s1
	s_xor_b32 s1, s14, -1
	v_cmp_gt_u64_e32 vcc_lo, s[16:17], v[1:2]
	s_and_b32 s15, s0, vcc_lo
	s_wait_alu 0xfffe
	s_and_b32 s1, s1, s15
	s_wait_alu 0xfffe
	s_and_saveexec_b32 s15, s1
	s_cbranch_execz .LBB0_16
; %bb.15:
	s_wait_loadcnt 0x6
	v_mad_co_u64_u32 v[12:13], null, s6, v8, 0
	s_wait_loadcnt 0x4
	v_mad_co_u64_u32 v[14:15], null, s4, v9, 0
	;; [unrolled: 2-line block ×3, first 2 shown]
	s_lshl_b64 s[16:17], s[10:11], 2
	s_wait_alu 0xfffe
	s_add_nc_u64 s[16:17], s[12:13], s[16:17]
	s_delay_alu instid0(VALU_DEP_2) | instskip(SKIP_1) | instid1(VALU_DEP_1)
	v_dual_mov_b32 v2, v13 :: v_dual_mov_b32 v13, v15
	s_wait_loadcnt 0x0
	v_mad_co_u64_u32 v[18:19], null, s7, v8, v[2:3]
	v_mad_co_u64_u32 v[19:20], null, s4, v10, 0
	s_delay_alu instid0(VALU_DEP_3) | instskip(NEXT) | instid1(VALU_DEP_3)
	v_mad_co_u64_u32 v[21:22], null, s5, v9, v[13:14]
	v_dual_mov_b32 v2, v17 :: v_dual_mov_b32 v13, v18
	s_delay_alu instid0(VALU_DEP_1) | instskip(SKIP_1) | instid1(VALU_DEP_4)
	v_mad_co_u64_u32 v[22:23], null, s5, v11, v[2:3]
	v_mad_co_u64_u32 v[23:24], null, s4, v7, 0
	v_dual_mov_b32 v2, v20 :: v_dual_mov_b32 v15, v21
	s_delay_alu instid0(VALU_DEP_4) | instskip(NEXT) | instid1(VALU_DEP_4)
	v_lshlrev_b64_e32 v[11:12], 2, v[12:13]
	v_mov_b32_e32 v17, v22
	s_delay_alu instid0(VALU_DEP_3)
	v_mad_co_u64_u32 v[20:21], null, s5, v10, v[2:3]
	v_mov_b32_e32 v2, v24
	v_lshlrev_b64_e32 v[13:14], 2, v[14:15]
	s_wait_alu 0xfffe
	v_add_co_u32 v28, s1, s16, v11
	s_wait_alu 0xf1ff
	v_add_co_ci_u32_e64 v29, s1, s17, v12, s1
	v_lshlrev_b64_e32 v[10:11], 2, v[16:17]
	s_delay_alu instid0(VALU_DEP_3)
	v_add_co_u32 v12, s1, v28, v13
	v_mad_co_u64_u32 v[16:17], null, s5, v7, v[2:3]
	s_wait_alu 0xf1ff
	v_add_co_ci_u32_e64 v13, s1, v29, v14, s1
	v_mad_co_u64_u32 v[14:15], null, s4, v6, 0
	v_mad_co_u64_u32 v[17:18], null, s4, v5, 0
	;; [unrolled: 1-line block ×3, first 2 shown]
	v_mov_b32_e32 v24, v16
	v_lshlrev_b64_e32 v[19:20], 2, v[19:20]
	v_mov_b32_e32 v2, v15
	v_add_co_u32 v10, s1, v28, v10
	v_mov_b32_e32 v7, v18
	s_wait_alu 0xf1ff
	v_add_co_ci_u32_e64 v11, s1, v29, v11, s1
	v_mad_co_u64_u32 v[15:16], null, s5, v6, v[2:3]
	s_delay_alu instid0(VALU_DEP_3)
	v_mad_co_u64_u32 v[5:6], null, s5, v5, v[7:8]
	v_mad_co_u64_u32 v[6:7], null, s4, v3, 0
	v_mov_b32_e32 v2, v22
	v_add_co_u32 v19, s1, v28, v19
	v_lshlrev_b64_e32 v[14:15], 2, v[14:15]
	v_mov_b32_e32 v18, v5
	s_delay_alu instid0(VALU_DEP_4) | instskip(SKIP_4) | instid1(VALU_DEP_3)
	v_mad_co_u64_u32 v[4:5], null, s5, v4, v[2:3]
	v_mov_b32_e32 v2, v7
	s_wait_alu 0xf1ff
	v_add_co_ci_u32_e64 v20, s1, v29, v20, s1
	v_lshlrev_b64_e32 v[16:17], 2, v[17:18]
	v_mad_co_u64_u32 v[2:3], null, s5, v3, v[2:3]
	s_delay_alu instid0(VALU_DEP_1) | instskip(SKIP_1) | instid1(VALU_DEP_2)
	v_mov_b32_e32 v7, v2
	v_lshlrev_b64_e32 v[22:23], 2, v[23:24]
	v_lshlrev_b64_e32 v[5:6], 2, v[6:7]
	s_delay_alu instid0(VALU_DEP_2) | instskip(SKIP_2) | instid1(VALU_DEP_4)
	v_add_co_u32 v24, s1, v28, v22
	v_mov_b32_e32 v22, v4
	s_wait_alu 0xf1ff
	v_add_co_ci_u32_e64 v25, s1, v29, v23, s1
	v_add_co_u32 v3, s1, v28, v14
	s_wait_alu 0xf1ff
	v_add_co_ci_u32_e64 v4, s1, v29, v15, s1
	v_lshlrev_b64_e32 v[14:15], 2, v[21:22]
	v_add_co_u32 v21, s1, v28, v16
	s_wait_alu 0xf1ff
	v_add_co_ci_u32_e64 v22, s1, v29, v17, s1
	s_delay_alu instid0(VALU_DEP_3)
	v_add_co_u32 v26, s1, v28, v14
	s_wait_alu 0xf1ff
	v_add_co_ci_u32_e64 v27, s1, v29, v15, s1
	v_add_co_u32 v5, s1, v28, v5
	s_wait_alu 0xf1ff
	v_add_co_ci_u32_e64 v6, s1, v29, v6, s1
	s_clause 0x7
	global_load_b32 v12, v[12:13], off
	global_load_b32 v13, v[10:11], off
	;; [unrolled: 1-line block ×8, first 2 shown]
.LBB0_16:
	s_wait_alu 0xfffe
	s_or_b32 exec_lo, exec_lo, s15
	s_wait_loadcnt 0x3
	v_pk_add_f16 v2, v12, v16 neg_lo:[0,1] neg_hi:[0,1]
	s_wait_loadcnt 0x1
	v_pk_add_f16 v3, v14, v18 neg_lo:[0,1] neg_hi:[0,1]
	v_pk_add_f16 v4, v13, v17 neg_lo:[0,1] neg_hi:[0,1]
	s_wait_loadcnt 0x0
	v_pk_add_f16 v5, v15, v19 neg_lo:[0,1] neg_hi:[0,1]
	v_pk_fma_f16 v12, v12, 2.0, v2 op_sel_hi:[1,0,1] neg_lo:[0,0,1] neg_hi:[0,0,1]
	v_pk_add_f16 v6, v2, v3 op_sel:[0,1] op_sel_hi:[1,0]
	v_pk_add_f16 v11, v2, v3 op_sel:[0,1] op_sel_hi:[1,0] neg_lo:[0,1] neg_hi:[0,1]
	s_delay_alu instid0(VALU_DEP_4) | instskip(SKIP_3) | instid1(VALU_DEP_3)
	v_pk_add_f16 v7, v4, v5 op_sel:[0,1] op_sel_hi:[1,0]
	v_pk_add_f16 v10, v4, v5 op_sel:[0,1] op_sel_hi:[1,0] neg_lo:[0,1] neg_hi:[0,1]
	v_pk_fma_f16 v3, v14, 2.0, v3 op_sel_hi:[1,0,1] neg_lo:[0,0,1] neg_hi:[0,0,1]
	v_pk_fma_f16 v5, v15, 2.0, v5 op_sel_hi:[1,0,1] neg_lo:[0,0,1] neg_hi:[0,0,1]
	v_bfi_b32 v7, 0xffff, v7, v10
	v_bfi_b32 v10, 0xffff, v6, v11
	v_pk_fma_f16 v6, v13, 2.0, v4 op_sel_hi:[1,0,1] neg_lo:[0,0,1] neg_hi:[0,0,1]
	v_pk_add_f16 v17, v12, v3 neg_lo:[0,1] neg_hi:[0,1]
	s_delay_alu instid0(VALU_DEP_4) | instskip(NEXT) | instid1(VALU_DEP_4)
	v_pk_fma_f16 v4, v4, 2.0, v7 op_sel_hi:[1,0,1] neg_lo:[0,0,1] neg_hi:[0,0,1]
	v_pk_fma_f16 v2, v2, 2.0, v10 op_sel_hi:[1,0,1] neg_lo:[0,0,1] neg_hi:[0,0,1]
	s_delay_alu instid0(VALU_DEP_4) | instskip(NEXT) | instid1(VALU_DEP_4)
	v_pk_add_f16 v3, v6, v5 neg_lo:[0,1] neg_hi:[0,1]
	v_pk_fma_f16 v12, v12, 2.0, v17 op_sel_hi:[1,0,1] neg_lo:[0,0,1] neg_hi:[0,0,1]
	v_pk_mul_f16 v13, 0x39a8, v7 op_sel_hi:[0,1]
	v_pk_mul_f16 v11, 0x39a8, v4 op_sel_hi:[0,1]
	v_pk_fma_f16 v4, 0x39a8, v4, v2 op_sel_hi:[0,1,1] neg_lo:[0,1,0] neg_hi:[0,1,0]
	v_pk_fma_f16 v6, v6, 2.0, v3 op_sel_hi:[1,0,1] neg_lo:[0,0,1] neg_hi:[0,0,1]
	v_pk_fma_f16 v7, 0x39a8, v7, v10 op_sel_hi:[0,1,1]
	v_lshrrev_b32_e32 v18, 16, v12
	s_delay_alu instid0(VALU_DEP_4)
	v_pk_add_f16 v5, v4, v11 op_sel:[0,1] op_sel_hi:[1,0]
	v_pk_add_f16 v11, v4, v11 op_sel:[0,1] op_sel_hi:[1,0] neg_lo:[0,1] neg_hi:[0,1]
	v_pk_add_f16 v4, v12, v6 neg_lo:[0,1] neg_hi:[0,1]
	v_pk_add_f16 v6, v17, v3 op_sel:[0,1] op_sel_hi:[1,0]
	v_pk_add_f16 v3, v17, v3 op_sel:[0,1] op_sel_hi:[1,0] neg_lo:[0,1] neg_hi:[0,1]
	v_pk_add_f16 v16, v7, v13 op_sel:[0,1] op_sel_hi:[1,0]
	v_pk_add_f16 v7, v7, v13 op_sel:[0,1] op_sel_hi:[1,0] neg_lo:[0,1] neg_hi:[0,1]
	v_bfi_b32 v14, 0xffff, v5, v11
	v_lshrrev_b32_e32 v13, 16, v4
	v_bfi_b32 v15, 0xffff, v6, v3
	s_delay_alu instid0(VALU_DEP_4) | instskip(NEXT) | instid1(VALU_DEP_4)
	v_bfi_b32 v16, 0xffff, v16, v7
	v_pk_fma_f16 v3, v2, 2.0, v14 op_sel_hi:[1,0,1] neg_lo:[0,0,1] neg_hi:[0,0,1]
	v_fma_f16 v2, v12, 2.0, -v4
	v_fma_f16 v12, v18, 2.0, -v13
	v_pk_fma_f16 v6, v17, 2.0, v15 op_sel_hi:[1,0,1] neg_lo:[0,0,1] neg_hi:[0,0,1]
	v_pk_fma_f16 v7, v10, 2.0, v16 op_sel_hi:[1,0,1] neg_lo:[0,0,1] neg_hi:[0,0,1]
	v_lshlrev_b32_e32 v10, 2, v8
	s_and_saveexec_b32 s1, s0
	s_cbranch_execz .LBB0_18
; %bb.17:
	v_mul_u32_u24_e32 v17, 0x50, v9
	v_and_b32_e32 v18, 0xffff, v2
	v_lshlrev_b32_e32 v19, 16, v12
	s_delay_alu instid0(VALU_DEP_3) | instskip(NEXT) | instid1(VALU_DEP_2)
	v_lshlrev_b32_e32 v17, 2, v17
	v_or_b32_e32 v18, v19, v18
	s_delay_alu instid0(VALU_DEP_2)
	v_add3_u32 v17, 0, v17, v10
	ds_store_2addr_b32 v17, v18, v3 offset1:10
	ds_store_2addr_b32 v17, v6, v7 offset0:20 offset1:30
	ds_store_2addr_b32 v17, v4, v14 offset0:40 offset1:50
	;; [unrolled: 1-line block ×3, first 2 shown]
.LBB0_18:
	s_wait_alu 0xfffe
	s_or_b32 exec_lo, exec_lo, s1
	v_cmp_gt_u32_e64 s0, 0x140, v0
	v_lshrrev_b32_e32 v14, 16, v3
	v_lshrrev_b32_e32 v16, 16, v11
	;; [unrolled: 1-line block ×4, first 2 shown]
	v_mul_u32_u24_e32 v11, 40, v9
	global_wb scope:SCOPE_SE
	s_wait_dscnt 0x0
	s_barrier_signal -1
	s_barrier_wait -1
	global_inv scope:SCOPE_SE
	s_and_saveexec_b32 s1, s0
	s_cbranch_execz .LBB0_20
; %bb.19:
	v_add3_u32 v4, 0, v11, v10
	ds_load_2addr_stride64_b32 v[2:3], v4 offset1:5
	ds_load_2addr_stride64_b32 v[6:7], v4 offset0:10 offset1:15
	ds_load_2addr_stride64_b32 v[4:5], v4 offset0:20 offset1:25
	s_wait_dscnt 0x2
	v_lshrrev_b32_e32 v14, 16, v3
	s_wait_dscnt 0x1
	v_lshrrev_b32_e32 v17, 16, v6
	v_lshrrev_b32_e32 v15, 16, v7
	s_wait_dscnt 0x0
	v_lshrrev_b32_e32 v13, 16, v4
	v_lshrrev_b32_e32 v16, 16, v5
	;; [unrolled: 1-line block ×3, first 2 shown]
.LBB0_20:
	s_wait_alu 0xfffe
	s_or_b32 exec_lo, exec_lo, s1
	global_wb scope:SCOPE_SE
	s_barrier_signal -1
	s_barrier_wait -1
	global_inv scope:SCOPE_SE
	s_and_saveexec_b32 s1, s0
	s_cbranch_execz .LBB0_22
; %bb.21:
	v_and_b32_e32 v22, 7, v9
	v_lshrrev_b32_e32 v24, 3, v9
	s_delay_alu instid0(VALU_DEP_2) | instskip(NEXT) | instid1(VALU_DEP_2)
	v_mul_u32_u24_e32 v18, 5, v22
	v_mul_u32_u24_e32 v24, 48, v24
	s_delay_alu instid0(VALU_DEP_2) | instskip(NEXT) | instid1(VALU_DEP_2)
	v_lshlrev_b32_e32 v23, 2, v18
	v_or_b32_e32 v22, v24, v22
	s_clause 0x1
	global_load_b128 v[18:21], v23, s[2:3]
	global_load_b32 v23, v23, s[2:3] offset:16
	v_mul_u32_u24_e32 v22, 40, v22
	s_delay_alu instid0(VALU_DEP_1) | instskip(NEXT) | instid1(VALU_DEP_1)
	v_add3_u32 v22, 0, v22, v10
	v_add_nc_u32_e32 v24, 0x400, v22
	s_wait_loadcnt 0x1
	v_lshrrev_b32_e32 v26, 16, v21
	v_lshrrev_b32_e32 v27, 16, v18
	;; [unrolled: 1-line block ×3, first 2 shown]
	s_wait_loadcnt 0x0
	v_lshrrev_b32_e32 v29, 16, v23
	v_lshrrev_b32_e32 v25, 16, v19
	v_mul_f16_e32 v31, v4, v26
	v_mul_f16_e32 v26, v13, v26
	;; [unrolled: 1-line block ×10, first 2 shown]
	v_fmac_f16_e32 v26, v4, v21
	v_fmac_f16_e32 v32, v3, v18
	v_fma_f16 v3, v15, v20, -v28
	v_fma_f16 v4, v16, v23, -v29
	;; [unrolled: 1-line block ×4, first 2 shown]
	v_fmac_f16_e32 v25, v6, v19
	v_fmac_f16_e32 v33, v7, v20
	;; [unrolled: 1-line block ×3, first 2 shown]
	v_fma_f16 v5, v14, v18, -v27
	v_add_f16_e32 v16, v3, v4
	v_add_f16_e32 v6, v17, v13
	v_sub_f16_e32 v15, v3, v4
	v_add_f16_e32 v14, v33, v34
	v_sub_f16_e32 v18, v33, v34
	v_add_f16_e32 v19, v12, v17
	v_add_f16_e32 v3, v5, v3
	;; [unrolled: 1-line block ×3, first 2 shown]
	v_fma_f16 v5, -0.5, v16, v5
	v_add_f16_e32 v21, v2, v25
	v_add_f16_e32 v23, v32, v33
	v_sub_f16_e32 v7, v25, v26
	v_sub_f16_e32 v17, v17, v13
	v_fma_f16 v6, -0.5, v6, v12
	v_fma_f16 v12, -0.5, v14, v32
	v_add_f16_e32 v13, v19, v13
	v_add_f16_e32 v3, v3, v4
	v_fma_f16 v2, -0.5, v20, v2
	v_fmamk_f16 v20, v18, 0xbaee, v5
	v_fmac_f16_e32 v5, 0x3aee, v18
	v_add_f16_e32 v4, v21, v26
	v_add_f16_e32 v14, v23, v34
	v_fmamk_f16 v16, v7, 0xbaee, v6
	v_fmamk_f16 v19, v15, 0x3aee, v12
	v_fmac_f16_e32 v6, 0x3aee, v7
	v_fmac_f16_e32 v12, 0xbaee, v15
	v_sub_f16_e32 v7, v13, v3
	v_add_f16_e32 v3, v13, v3
	v_mul_f16_e32 v13, -0.5, v20
	v_mul_f16_e32 v18, 0.5, v5
	v_mul_f16_e32 v5, 0xbaee, v5
	v_fmamk_f16 v15, v17, 0x3aee, v2
	v_fmac_f16_e32 v2, 0xbaee, v17
	v_sub_f16_e32 v17, v4, v14
	v_add_f16_e32 v4, v4, v14
	v_mul_f16_e32 v14, 0xbaee, v20
	v_fmac_f16_e32 v13, 0x3aee, v19
	v_fmac_f16_e32 v18, 0x3aee, v12
	v_fmac_f16_e32 v5, 0.5, v12
	v_pack_b32_f16 v3, v4, v3
	v_fmac_f16_e32 v14, -0.5, v19
	v_sub_f16_e32 v4, v16, v13
	v_sub_f16_e32 v12, v6, v18
	v_add_f16_e32 v13, v16, v13
	v_add_f16_e32 v6, v6, v18
	;; [unrolled: 1-line block ×4, first 2 shown]
	v_sub_f16_e32 v2, v2, v5
	v_sub_f16_e32 v5, v15, v14
	v_pack_b32_f16 v7, v17, v7
	v_pack_b32_f16 v6, v16, v6
	v_pack_b32_f16 v13, v18, v13
	v_pack_b32_f16 v2, v2, v12
	v_pack_b32_f16 v4, v5, v4
	ds_store_2addr_b32 v22, v3, v6 offset1:80
	ds_store_2addr_b32 v22, v13, v7 offset0:160 offset1:240
	ds_store_2addr_b32 v24, v2, v4 offset0:64 offset1:144
.LBB0_22:
	s_wait_alu 0xfffe
	s_or_b32 exec_lo, exec_lo, s1
	s_or_b32 s0, s14, vcc_lo
	global_wb scope:SCOPE_SE
	s_wait_dscnt 0x0
	s_barrier_signal -1
	s_barrier_wait -1
	global_inv scope:SCOPE_SE
	s_wait_alu 0xfffe
	s_and_saveexec_b32 s1, s0
	s_cbranch_execz .LBB0_24
; %bb.23:
	v_mul_lo_u16 v2, v9, 43
	v_and_b32_e32 v0, 0xffff, v0
	s_lshl_b64 s[0:1], s[10:11], 2
	s_wait_alu 0xfffe
	s_add_nc_u64 s[0:1], s[12:13], s[0:1]
	v_lshrrev_b16 v2, 11, v2
	v_mul_u32_u24_e32 v0, 0x223, v0
	s_delay_alu instid0(VALU_DEP_2) | instskip(NEXT) | instid1(VALU_DEP_1)
	v_mul_lo_u16 v2, v2, 48
	v_sub_nc_u16 v2, v9, v2
	s_delay_alu instid0(VALU_DEP_1) | instskip(NEXT) | instid1(VALU_DEP_1)
	v_and_b32_e32 v5, 0xff, v2
	v_mul_u32_u24_e32 v2, 3, v5
	v_add_nc_u32_e32 v3, 0x90, v5
	v_add_nc_u32_e32 v4, 0x60, v5
	;; [unrolled: 1-line block ×3, first 2 shown]
	v_mul_lo_u32 v6, v1, v5
	v_lshlrev_b32_e32 v2, 2, v2
	v_mul_lo_u32 v9, v1, v3
	v_mul_lo_u32 v12, v1, v4
	;; [unrolled: 1-line block ×3, first 2 shown]
	global_load_b96 v[2:4], v2, s[2:3] offset:160
	v_and_b32_e32 v7, 0xff, v6
	v_lshrrev_b32_e32 v6, 6, v6
	v_and_b32_e32 v13, 0xff, v9
	v_lshrrev_b32_e32 v9, 6, v9
	;; [unrolled: 2-line block ×4, first 2 shown]
	v_lshlrev_b32_e32 v13, 2, v13
	v_and_b32_e32 v9, 0x3fc, v9
	v_lshlrev_b32_e32 v14, 2, v14
	v_and_b32_e32 v12, 0x3fc, v12
	v_lshlrev_b32_e32 v15, 2, v15
	v_lshlrev_b32_e32 v7, 2, v7
	v_and_b32_e32 v6, 0x3fc, v6
	v_and_b32_e32 v1, 0x3fc, v1
	s_clause 0x7
	global_load_b32 v19, v13, s[8:9]
	global_load_b32 v20, v9, s[8:9] offset:1024
	global_load_b32 v21, v14, s[8:9]
	global_load_b32 v22, v12, s[8:9] offset:1024
	;; [unrolled: 2-line block ×4, first 2 shown]
	v_lshrrev_b32_e32 v6, 18, v0
	v_mad_co_u64_u32 v[0:1], null, s6, v8, 0
	v_add3_u32 v7, 0, v11, v10
	ds_load_b32 v27, v7
	ds_load_b32 v28, v7 offset:5760
	v_mul_lo_u16 v6, 0xc0, v6
	ds_load_b32 v29, v7 offset:3840
	ds_load_b32 v30, v7 offset:1920
	v_and_b32_e32 v6, 0xffff, v6
	s_delay_alu instid0(VALU_DEP_1) | instskip(NEXT) | instid1(VALU_DEP_1)
	v_or_b32_e32 v14, v5, v6
	v_add_nc_u32_e32 v16, 48, v14
	v_add_nc_u32_e32 v17, 0x60, v14
	;; [unrolled: 1-line block ×3, first 2 shown]
	s_wait_dscnt 0x3
	v_lshrrev_b32_e32 v31, 16, v27
	s_wait_dscnt 0x2
	v_lshrrev_b32_e32 v32, 16, v28
	v_mad_co_u64_u32 v[10:11], null, s4, v17, 0
	v_mad_co_u64_u32 v[12:13], null, s4, v18, 0
	s_wait_loadcnt 0x8
	v_mad_co_u64_u32 v[5:6], null, s7, v8, v[1:2]
	v_mad_co_u64_u32 v[8:9], null, s4, v16, 0
	;; [unrolled: 1-line block ×3, first 2 shown]
	s_delay_alu instid0(VALU_DEP_3) | instskip(NEXT) | instid1(VALU_DEP_3)
	v_mov_b32_e32 v1, v5
	v_mov_b32_e32 v5, v9
	;; [unrolled: 1-line block ×3, first 2 shown]
	s_delay_alu instid0(VALU_DEP_4) | instskip(SKIP_1) | instid1(VALU_DEP_4)
	v_mad_co_u64_u32 v[14:15], null, s5, v14, v[7:8]
	v_mov_b32_e32 v7, v11
	v_mad_co_u64_u32 v[15:16], null, s5, v16, v[5:6]
	v_lshlrev_b64_e32 v[0:1], 2, v[0:1]
	s_delay_alu instid0(VALU_DEP_3)
	v_mad_co_u64_u32 v[16:17], null, s5, v17, v[7:8]
	v_mad_co_u64_u32 v[17:18], null, s5, v18, v[9:10]
	v_mov_b32_e32 v7, v14
	v_mov_b32_e32 v9, v15
	s_wait_alu 0xfffe
	v_add_co_u32 v15, vcc_lo, s0, v0
	v_mov_b32_e32 v11, v16
	s_wait_dscnt 0x1
	v_lshrrev_b32_e32 v14, 16, v29
	v_mov_b32_e32 v13, v17
	s_wait_dscnt 0x0
	v_lshrrev_b32_e32 v18, 16, v30
	v_lshlrev_b64_e32 v[5:6], 2, v[6:7]
	s_wait_alu 0xfffd
	v_add_co_ci_u32_e32 v16, vcc_lo, s1, v1, vcc_lo
	v_lshlrev_b64_e32 v[0:1], 2, v[8:9]
	v_lshlrev_b64_e32 v[7:8], 2, v[10:11]
	;; [unrolled: 1-line block ×3, first 2 shown]
	v_lshrrev_b32_e32 v11, 16, v2
	v_lshrrev_b32_e32 v12, 16, v3
	;; [unrolled: 1-line block ×3, first 2 shown]
	v_add_co_u32 v5, vcc_lo, v15, v5
	s_delay_alu instid0(VALU_DEP_4) | instskip(NEXT) | instid1(VALU_DEP_4)
	v_mul_f16_e32 v33, v11, v18
	v_mul_f16_e32 v17, v12, v29
	s_delay_alu instid0(VALU_DEP_4)
	v_mul_f16_e32 v34, v13, v32
	v_mul_f16_e32 v12, v12, v14
	v_mul_f16_e32 v11, v11, v30
	v_mul_f16_e32 v13, v13, v28
	v_fma_f16 v14, v3, v14, -v17
	v_fmac_f16_e32 v33, v2, v30
	v_fmac_f16_e32 v34, v4, v28
	;; [unrolled: 1-line block ×3, first 2 shown]
	v_fma_f16 v2, v2, v18, -v11
	v_fma_f16 v3, v4, v32, -v13
	s_wait_loadcnt 0x7
	v_lshrrev_b32_e32 v4, 16, v19
	s_wait_loadcnt 0x6
	v_lshrrev_b32_e32 v11, 16, v20
	;; [unrolled: 2-line block ×4, first 2 shown]
	v_sub_f16_e32 v14, v31, v14
	v_sub_f16_e32 v32, v33, v34
	;; [unrolled: 1-line block ×4, first 2 shown]
	s_wait_loadcnt 0x3
	v_lshrrev_b32_e32 v18, 16, v23
	s_wait_loadcnt 0x2
	v_lshrrev_b32_e32 v28, 16, v24
	s_wait_loadcnt 0x1
	v_lshrrev_b32_e32 v29, 16, v25
	s_wait_loadcnt 0x0
	v_lshrrev_b32_e32 v30, 16, v26
	v_mul_f16_e32 v34, v4, v11
	v_mul_f16_e32 v11, v19, v11
	;; [unrolled: 1-line block ×4, first 2 shown]
	v_add_f16_e32 v39, v12, v3
	v_fma_f16 v31, v31, 2.0, -v14
	v_fma_f16 v2, v2, 2.0, -v3
	v_fma_f16 v3, v27, 2.0, -v12
	v_fma_f16 v27, v33, 2.0, -v32
	v_mul_f16_e32 v36, v18, v28
	v_mul_f16_e32 v28, v23, v28
	;; [unrolled: 1-line block ×4, first 2 shown]
	v_sub_f16_e32 v38, v14, v32
	v_fma_f16 v19, v19, v20, -v34
	v_fmac_f16_e32 v11, v4, v20
	v_fmac_f16_e32 v17, v13, v22
	v_sub_f16_e32 v2, v31, v2
	v_sub_f16_e32 v20, v3, v27
	v_fma_f16 v4, v21, v22, -v35
	v_fmac_f16_e32 v28, v18, v24
	v_fma_f16 v18, v25, v26, -v37
	v_fmac_f16_e32 v30, v29, v26
	v_fma_f16 v14, v14, 2.0, -v38
	v_mul_f16_e32 v21, v39, v11
	v_mul_f16_e32 v11, v38, v11
	;; [unrolled: 1-line block ×3, first 2 shown]
	v_fma_f16 v3, v3, 2.0, -v20
	v_fma_f16 v25, v31, 2.0, -v2
	;; [unrolled: 1-line block ×3, first 2 shown]
	v_fma_f16 v13, v23, v24, -v36
	v_mul_f16_e32 v17, v2, v17
	v_mul_f16_e32 v24, v14, v28
	v_fma_f16 v21, v38, v19, -v21
	v_fmac_f16_e32 v11, v39, v19
	v_fma_f16 v19, v2, v4, -v22
	v_mul_f16_e32 v2, v3, v30
	v_mul_f16_e32 v22, v25, v30
	;; [unrolled: 1-line block ×3, first 2 shown]
	s_wait_alu 0xfffd
	v_add_co_ci_u32_e32 v6, vcc_lo, v16, v6, vcc_lo
	v_add_co_u32 v0, vcc_lo, v15, v0
	v_fmac_f16_e32 v24, v12, v13
	v_fma_f16 v12, v25, v18, -v2
	v_fmac_f16_e32 v22, v3, v18
	s_wait_alu 0xfffd
	v_add_co_ci_u32_e32 v1, vcc_lo, v16, v1, vcc_lo
	v_fmac_f16_e32 v17, v20, v4
	v_fma_f16 v4, v14, v13, -v23
	v_add_co_u32 v7, vcc_lo, v15, v7
	s_wait_alu 0xfffd
	v_add_co_ci_u32_e32 v8, vcc_lo, v16, v8, vcc_lo
	v_add_co_u32 v2, vcc_lo, v15, v9
	v_pack_b32_f16 v9, v22, v12
	v_pack_b32_f16 v4, v24, v4
	s_wait_alu 0xfffd
	v_add_co_ci_u32_e32 v3, vcc_lo, v16, v10, vcc_lo
	v_pack_b32_f16 v10, v17, v19
	v_pack_b32_f16 v11, v11, v21
	s_clause 0x3
	global_store_b32 v[5:6], v9, off
	global_store_b32 v[0:1], v4, off
	;; [unrolled: 1-line block ×4, first 2 shown]
.LBB0_24:
	s_nop 0
	s_sendmsg sendmsg(MSG_DEALLOC_VGPRS)
	s_endpgm
	.section	.rodata,"a",@progbits
	.p2align	6, 0x0
	.amdhsa_kernel fft_rtc_back_len192_factors_8_6_4_wgs_480_tpt_48_half_ip_CI_sbcc_twdbase8_2step_dirReg
		.amdhsa_group_segment_fixed_size 0
		.amdhsa_private_segment_fixed_size 0
		.amdhsa_kernarg_size 96
		.amdhsa_user_sgpr_count 2
		.amdhsa_user_sgpr_dispatch_ptr 0
		.amdhsa_user_sgpr_queue_ptr 0
		.amdhsa_user_sgpr_kernarg_segment_ptr 1
		.amdhsa_user_sgpr_dispatch_id 0
		.amdhsa_user_sgpr_private_segment_size 0
		.amdhsa_wavefront_size32 1
		.amdhsa_uses_dynamic_stack 0
		.amdhsa_enable_private_segment 0
		.amdhsa_system_sgpr_workgroup_id_x 1
		.amdhsa_system_sgpr_workgroup_id_y 0
		.amdhsa_system_sgpr_workgroup_id_z 0
		.amdhsa_system_sgpr_workgroup_info 0
		.amdhsa_system_vgpr_workitem_id 0
		.amdhsa_next_free_vgpr 40
		.amdhsa_next_free_sgpr 51
		.amdhsa_reserve_vcc 1
		.amdhsa_float_round_mode_32 0
		.amdhsa_float_round_mode_16_64 0
		.amdhsa_float_denorm_mode_32 3
		.amdhsa_float_denorm_mode_16_64 3
		.amdhsa_fp16_overflow 0
		.amdhsa_workgroup_processor_mode 1
		.amdhsa_memory_ordered 1
		.amdhsa_forward_progress 0
		.amdhsa_round_robin_scheduling 0
		.amdhsa_exception_fp_ieee_invalid_op 0
		.amdhsa_exception_fp_denorm_src 0
		.amdhsa_exception_fp_ieee_div_zero 0
		.amdhsa_exception_fp_ieee_overflow 0
		.amdhsa_exception_fp_ieee_underflow 0
		.amdhsa_exception_fp_ieee_inexact 0
		.amdhsa_exception_int_div_zero 0
	.end_amdhsa_kernel
	.text
.Lfunc_end0:
	.size	fft_rtc_back_len192_factors_8_6_4_wgs_480_tpt_48_half_ip_CI_sbcc_twdbase8_2step_dirReg, .Lfunc_end0-fft_rtc_back_len192_factors_8_6_4_wgs_480_tpt_48_half_ip_CI_sbcc_twdbase8_2step_dirReg
                                        ; -- End function
	.section	.AMDGPU.csdata,"",@progbits
; Kernel info:
; codeLenInByte = 5376
; NumSgprs: 53
; NumVgprs: 40
; ScratchSize: 0
; MemoryBound: 0
; FloatMode: 240
; IeeeMode: 1
; LDSByteSize: 0 bytes/workgroup (compile time only)
; SGPRBlocks: 6
; VGPRBlocks: 4
; NumSGPRsForWavesPerEU: 53
; NumVGPRsForWavesPerEU: 40
; Occupancy: 15
; WaveLimiterHint : 1
; COMPUTE_PGM_RSRC2:SCRATCH_EN: 0
; COMPUTE_PGM_RSRC2:USER_SGPR: 2
; COMPUTE_PGM_RSRC2:TRAP_HANDLER: 0
; COMPUTE_PGM_RSRC2:TGID_X_EN: 1
; COMPUTE_PGM_RSRC2:TGID_Y_EN: 0
; COMPUTE_PGM_RSRC2:TGID_Z_EN: 0
; COMPUTE_PGM_RSRC2:TIDIG_COMP_CNT: 0
	.text
	.p2alignl 7, 3214868480
	.fill 96, 4, 3214868480
	.type	__hip_cuid_fe969fec38ace070,@object ; @__hip_cuid_fe969fec38ace070
	.section	.bss,"aw",@nobits
	.globl	__hip_cuid_fe969fec38ace070
__hip_cuid_fe969fec38ace070:
	.byte	0                               ; 0x0
	.size	__hip_cuid_fe969fec38ace070, 1

	.ident	"AMD clang version 19.0.0git (https://github.com/RadeonOpenCompute/llvm-project roc-6.4.0 25133 c7fe45cf4b819c5991fe208aaa96edf142730f1d)"
	.section	".note.GNU-stack","",@progbits
	.addrsig
	.addrsig_sym __hip_cuid_fe969fec38ace070
	.amdgpu_metadata
---
amdhsa.kernels:
  - .args:
      - .actual_access:  read_only
        .address_space:  global
        .offset:         0
        .size:           8
        .value_kind:     global_buffer
      - .address_space:  global
        .offset:         8
        .size:           8
        .value_kind:     global_buffer
      - .offset:         16
        .size:           8
        .value_kind:     by_value
      - .actual_access:  read_only
        .address_space:  global
        .offset:         24
        .size:           8
        .value_kind:     global_buffer
      - .actual_access:  read_only
        .address_space:  global
        .offset:         32
        .size:           8
        .value_kind:     global_buffer
      - .offset:         40
        .size:           8
        .value_kind:     by_value
      - .actual_access:  read_only
        .address_space:  global
        .offset:         48
        .size:           8
        .value_kind:     global_buffer
      - .actual_access:  read_only
        .address_space:  global
        .offset:         56
        .size:           8
        .value_kind:     global_buffer
      - .offset:         64
        .size:           4
        .value_kind:     by_value
      - .actual_access:  read_only
        .address_space:  global
        .offset:         72
        .size:           8
        .value_kind:     global_buffer
      - .actual_access:  read_only
        .address_space:  global
        .offset:         80
        .size:           8
        .value_kind:     global_buffer
      - .address_space:  global
        .offset:         88
        .size:           8
        .value_kind:     global_buffer
    .group_segment_fixed_size: 0
    .kernarg_segment_align: 8
    .kernarg_segment_size: 96
    .language:       OpenCL C
    .language_version:
      - 2
      - 0
    .max_flat_workgroup_size: 480
    .name:           fft_rtc_back_len192_factors_8_6_4_wgs_480_tpt_48_half_ip_CI_sbcc_twdbase8_2step_dirReg
    .private_segment_fixed_size: 0
    .sgpr_count:     53
    .sgpr_spill_count: 0
    .symbol:         fft_rtc_back_len192_factors_8_6_4_wgs_480_tpt_48_half_ip_CI_sbcc_twdbase8_2step_dirReg.kd
    .uniform_work_group_size: 1
    .uses_dynamic_stack: false
    .vgpr_count:     40
    .vgpr_spill_count: 0
    .wavefront_size: 32
    .workgroup_processor_mode: 1
amdhsa.target:   amdgcn-amd-amdhsa--gfx1201
amdhsa.version:
  - 1
  - 2
...

	.end_amdgpu_metadata
